;; amdgpu-corpus repo=ROCm/rocFFT kind=compiled arch=gfx1030 opt=O3
	.text
	.amdgcn_target "amdgcn-amd-amdhsa--gfx1030"
	.amdhsa_code_object_version 6
	.protected	fft_rtc_back_len588_factors_7_3_4_7_wgs_252_tpt_84_sp_op_CI_CI_sbrr_dirReg ; -- Begin function fft_rtc_back_len588_factors_7_3_4_7_wgs_252_tpt_84_sp_op_CI_CI_sbrr_dirReg
	.globl	fft_rtc_back_len588_factors_7_3_4_7_wgs_252_tpt_84_sp_op_CI_CI_sbrr_dirReg
	.p2align	8
	.type	fft_rtc_back_len588_factors_7_3_4_7_wgs_252_tpt_84_sp_op_CI_CI_sbrr_dirReg,@function
fft_rtc_back_len588_factors_7_3_4_7_wgs_252_tpt_84_sp_op_CI_CI_sbrr_dirReg: ; @fft_rtc_back_len588_factors_7_3_4_7_wgs_252_tpt_84_sp_op_CI_CI_sbrr_dirReg
; %bb.0:
	s_clause 0x1
	s_load_dwordx4 s[16:19], s[4:5], 0x18
	s_load_dwordx4 s[12:15], s[4:5], 0x0
	v_mul_u32_u24_e32 v1, 0x30d, v0
	v_mov_b32_e32 v5, 0
	s_load_dwordx4 s[8:11], s[4:5], 0x58
	s_waitcnt lgkmcnt(0)
	s_load_dwordx2 s[20:21], s[16:17], 0x0
	s_load_dwordx2 s[2:3], s[18:19], 0x0
	v_lshrrev_b32_e32 v1, 16, v1
	v_cmp_lt_u64_e64 s0, s[14:15], 2
	v_mad_u64_u32 v[3:4], null, s6, 3, v[1:2]
	v_mov_b32_e32 v1, 0
	v_mov_b32_e32 v2, 0
	;; [unrolled: 1-line block ×3, first 2 shown]
	s_and_b32 vcc_lo, exec_lo, s0
	v_mov_b32_e32 v15, v2
	v_mov_b32_e32 v17, v4
	;; [unrolled: 1-line block ×4, first 2 shown]
	s_cbranch_vccnz .LBB0_8
; %bb.1:
	s_load_dwordx2 s[0:1], s[4:5], 0x10
	v_mov_b32_e32 v1, 0
	v_mov_b32_e32 v2, 0
	s_add_u32 s6, s18, 8
	v_mov_b32_e32 v8, v4
	s_addc_u32 s7, s19, 0
	v_mov_b32_e32 v7, v3
	v_mov_b32_e32 v15, v2
	s_add_u32 s22, s16, 8
	v_mov_b32_e32 v14, v1
	s_addc_u32 s23, s17, 0
	s_mov_b64 s[26:27], 1
	s_waitcnt lgkmcnt(0)
	s_add_u32 s24, s0, 8
	s_addc_u32 s25, s1, 0
.LBB0_2:                                ; =>This Inner Loop Header: Depth=1
	s_load_dwordx2 s[28:29], s[24:25], 0x0
                                        ; implicit-def: $vgpr16_vgpr17
	s_mov_b32 s0, exec_lo
	s_waitcnt lgkmcnt(0)
	v_or_b32_e32 v6, s29, v8
	v_cmpx_ne_u64_e32 0, v[5:6]
	s_xor_b32 s1, exec_lo, s0
	s_cbranch_execz .LBB0_4
; %bb.3:                                ;   in Loop: Header=BB0_2 Depth=1
	v_cvt_f32_u32_e32 v4, s28
	v_cvt_f32_u32_e32 v6, s29
	s_sub_u32 s0, 0, s28
	s_subb_u32 s30, 0, s29
	v_fmac_f32_e32 v4, 0x4f800000, v6
	v_rcp_f32_e32 v4, v4
	v_mul_f32_e32 v4, 0x5f7ffffc, v4
	v_mul_f32_e32 v6, 0x2f800000, v4
	v_trunc_f32_e32 v6, v6
	v_fmac_f32_e32 v4, 0xcf800000, v6
	v_cvt_u32_f32_e32 v6, v6
	v_cvt_u32_f32_e32 v4, v4
	v_mul_lo_u32 v9, s0, v6
	v_mul_hi_u32 v10, s0, v4
	v_mul_lo_u32 v11, s30, v4
	v_add_nc_u32_e32 v9, v10, v9
	v_mul_lo_u32 v10, s0, v4
	v_add_nc_u32_e32 v9, v9, v11
	v_mul_hi_u32 v11, v4, v10
	v_mul_lo_u32 v12, v4, v9
	v_mul_hi_u32 v13, v4, v9
	v_mul_hi_u32 v16, v6, v10
	v_mul_lo_u32 v10, v6, v10
	v_mul_hi_u32 v17, v6, v9
	v_mul_lo_u32 v9, v6, v9
	v_add_co_u32 v11, vcc_lo, v11, v12
	v_add_co_ci_u32_e32 v12, vcc_lo, 0, v13, vcc_lo
	v_add_co_u32 v10, vcc_lo, v11, v10
	v_add_co_ci_u32_e32 v10, vcc_lo, v12, v16, vcc_lo
	v_add_co_ci_u32_e32 v11, vcc_lo, 0, v17, vcc_lo
	v_add_co_u32 v9, vcc_lo, v10, v9
	v_add_co_ci_u32_e32 v10, vcc_lo, 0, v11, vcc_lo
	v_add_co_u32 v4, vcc_lo, v4, v9
	v_add_co_ci_u32_e32 v6, vcc_lo, v6, v10, vcc_lo
	v_mul_hi_u32 v9, s0, v4
	v_mul_lo_u32 v11, s30, v4
	v_mul_lo_u32 v10, s0, v6
	v_add_nc_u32_e32 v9, v9, v10
	v_mul_lo_u32 v10, s0, v4
	v_add_nc_u32_e32 v9, v9, v11
	v_mul_hi_u32 v11, v4, v10
	v_mul_lo_u32 v12, v4, v9
	v_mul_hi_u32 v13, v4, v9
	v_mul_hi_u32 v16, v6, v10
	v_mul_lo_u32 v10, v6, v10
	v_mul_hi_u32 v17, v6, v9
	v_mul_lo_u32 v9, v6, v9
	v_add_co_u32 v11, vcc_lo, v11, v12
	v_add_co_ci_u32_e32 v12, vcc_lo, 0, v13, vcc_lo
	v_add_co_u32 v10, vcc_lo, v11, v10
	v_add_co_ci_u32_e32 v10, vcc_lo, v12, v16, vcc_lo
	v_add_co_ci_u32_e32 v11, vcc_lo, 0, v17, vcc_lo
	v_add_co_u32 v9, vcc_lo, v10, v9
	v_add_co_ci_u32_e32 v10, vcc_lo, 0, v11, vcc_lo
	v_add_co_u32 v4, vcc_lo, v4, v9
	v_add_co_ci_u32_e32 v6, vcc_lo, v6, v10, vcc_lo
	v_mul_hi_u32 v13, v7, v4
	v_mad_u64_u32 v[11:12], null, v8, v4, 0
	v_mad_u64_u32 v[9:10], null, v7, v6, 0
	v_mad_u64_u32 v[16:17], null, v8, v6, 0
	v_add_co_u32 v4, vcc_lo, v13, v9
	v_add_co_ci_u32_e32 v6, vcc_lo, 0, v10, vcc_lo
	v_add_co_u32 v4, vcc_lo, v4, v11
	v_add_co_ci_u32_e32 v4, vcc_lo, v6, v12, vcc_lo
	v_add_co_ci_u32_e32 v6, vcc_lo, 0, v17, vcc_lo
	v_add_co_u32 v4, vcc_lo, v4, v16
	v_add_co_ci_u32_e32 v6, vcc_lo, 0, v6, vcc_lo
	v_mul_lo_u32 v11, s29, v4
	v_mad_u64_u32 v[9:10], null, s28, v4, 0
	v_mul_lo_u32 v12, s28, v6
	v_sub_co_u32 v9, vcc_lo, v7, v9
	v_add3_u32 v10, v10, v12, v11
	v_sub_nc_u32_e32 v11, v8, v10
	v_subrev_co_ci_u32_e64 v11, s0, s29, v11, vcc_lo
	v_add_co_u32 v12, s0, v4, 2
	v_add_co_ci_u32_e64 v13, s0, 0, v6, s0
	v_sub_co_u32 v16, s0, v9, s28
	v_sub_co_ci_u32_e32 v10, vcc_lo, v8, v10, vcc_lo
	v_subrev_co_ci_u32_e64 v11, s0, 0, v11, s0
	v_cmp_le_u32_e32 vcc_lo, s28, v16
	v_cmp_eq_u32_e64 s0, s29, v10
	v_cndmask_b32_e64 v16, 0, -1, vcc_lo
	v_cmp_le_u32_e32 vcc_lo, s29, v11
	v_cndmask_b32_e64 v17, 0, -1, vcc_lo
	v_cmp_le_u32_e32 vcc_lo, s28, v9
	;; [unrolled: 2-line block ×3, first 2 shown]
	v_cndmask_b32_e64 v18, 0, -1, vcc_lo
	v_cmp_eq_u32_e32 vcc_lo, s29, v11
	v_cndmask_b32_e64 v9, v18, v9, s0
	v_cndmask_b32_e32 v11, v17, v16, vcc_lo
	v_add_co_u32 v16, vcc_lo, v4, 1
	v_add_co_ci_u32_e32 v17, vcc_lo, 0, v6, vcc_lo
	v_cmp_ne_u32_e32 vcc_lo, 0, v11
	v_cndmask_b32_e32 v10, v17, v13, vcc_lo
	v_cndmask_b32_e32 v11, v16, v12, vcc_lo
	v_cmp_ne_u32_e32 vcc_lo, 0, v9
	v_cndmask_b32_e32 v17, v6, v10, vcc_lo
	v_cndmask_b32_e32 v16, v4, v11, vcc_lo
.LBB0_4:                                ;   in Loop: Header=BB0_2 Depth=1
	s_andn2_saveexec_b32 s0, s1
	s_cbranch_execz .LBB0_6
; %bb.5:                                ;   in Loop: Header=BB0_2 Depth=1
	v_cvt_f32_u32_e32 v4, s28
	s_sub_i32 s1, 0, s28
	v_mov_b32_e32 v17, v5
	v_rcp_iflag_f32_e32 v4, v4
	v_mul_f32_e32 v4, 0x4f7ffffe, v4
	v_cvt_u32_f32_e32 v4, v4
	v_mul_lo_u32 v6, s1, v4
	v_mul_hi_u32 v6, v4, v6
	v_add_nc_u32_e32 v4, v4, v6
	v_mul_hi_u32 v4, v7, v4
	v_mul_lo_u32 v6, v4, s28
	v_add_nc_u32_e32 v9, 1, v4
	v_sub_nc_u32_e32 v6, v7, v6
	v_subrev_nc_u32_e32 v10, s28, v6
	v_cmp_le_u32_e32 vcc_lo, s28, v6
	v_cndmask_b32_e32 v6, v6, v10, vcc_lo
	v_cndmask_b32_e32 v4, v4, v9, vcc_lo
	v_cmp_le_u32_e32 vcc_lo, s28, v6
	v_add_nc_u32_e32 v9, 1, v4
	v_cndmask_b32_e32 v16, v4, v9, vcc_lo
.LBB0_6:                                ;   in Loop: Header=BB0_2 Depth=1
	s_or_b32 exec_lo, exec_lo, s0
	v_mul_lo_u32 v4, v17, s28
	v_mul_lo_u32 v6, v16, s29
	s_load_dwordx2 s[0:1], s[22:23], 0x0
	v_mad_u64_u32 v[9:10], null, v16, s28, 0
	s_load_dwordx2 s[28:29], s[6:7], 0x0
	s_add_u32 s26, s26, 1
	s_addc_u32 s27, s27, 0
	s_add_u32 s6, s6, 8
	s_addc_u32 s7, s7, 0
	s_add_u32 s22, s22, 8
	v_add3_u32 v4, v10, v6, v4
	v_sub_co_u32 v6, vcc_lo, v7, v9
	s_addc_u32 s23, s23, 0
	s_add_u32 s24, s24, 8
	v_sub_co_ci_u32_e32 v4, vcc_lo, v8, v4, vcc_lo
	s_addc_u32 s25, s25, 0
	s_waitcnt lgkmcnt(0)
	v_mul_lo_u32 v7, s0, v4
	v_mul_lo_u32 v8, s1, v6
	v_mad_u64_u32 v[1:2], null, s0, v6, v[1:2]
	v_mul_lo_u32 v4, s28, v4
	v_mul_lo_u32 v9, s29, v6
	v_mad_u64_u32 v[14:15], null, s28, v6, v[14:15]
	v_cmp_ge_u64_e64 s0, s[26:27], s[14:15]
	v_add3_u32 v2, v8, v2, v7
	v_add3_u32 v15, v9, v15, v4
	s_and_b32 vcc_lo, exec_lo, s0
	s_cbranch_vccnz .LBB0_8
; %bb.7:                                ;   in Loop: Header=BB0_2 Depth=1
	v_mov_b32_e32 v7, v16
	v_mov_b32_e32 v8, v17
	s_branch .LBB0_2
.LBB0_8:
	s_load_dwordx2 s[0:1], s[4:5], 0x28
	v_mul_hi_u32 v4, 0xaaaaaaab, v3
	s_lshl_b64 s[6:7], s[14:15], 3
                                        ; implicit-def: $vgpr22
                                        ; implicit-def: $vgpr26
                                        ; implicit-def: $vgpr30
	s_add_u32 s4, s18, s6
	s_addc_u32 s5, s19, s7
	v_lshrrev_b32_e32 v4, 1, v4
	v_lshl_add_u32 v5, v4, 1, v4
	v_mul_hi_u32 v4, 0x30c30c4, v0
	v_sub_nc_u32_e32 v3, v3, v5
	s_waitcnt lgkmcnt(0)
	v_cmp_gt_u64_e32 vcc_lo, s[0:1], v[16:17]
	v_cmp_le_u64_e64 s0, s[0:1], v[16:17]
	s_and_saveexec_b32 s1, s0
	s_xor_b32 s0, exec_lo, s1
; %bb.9:
	v_mul_u32_u24_e32 v1, 0x54, v4
                                        ; implicit-def: $vgpr4
	v_sub_nc_u32_e32 v22, v0, v1
                                        ; implicit-def: $vgpr0
                                        ; implicit-def: $vgpr1_vgpr2
	v_add_nc_u32_e32 v26, 0x54, v22
	v_add_nc_u32_e32 v30, 0xa8, v22
; %bb.10:
	s_or_saveexec_b32 s1, s0
	v_mul_u32_u24_e32 v3, 0x24c, v3
	v_lshlrev_b32_e32 v25, 3, v3
	s_xor_b32 exec_lo, exec_lo, s1
	s_cbranch_execz .LBB0_12
; %bb.11:
	s_add_u32 s6, s16, s6
	s_addc_u32 s7, s17, s7
	v_mul_u32_u24_e32 v3, 0x54, v4
	s_load_dwordx2 s[6:7], s[6:7], 0x0
	v_sub_nc_u32_e32 v22, v0, v3
	v_lshlrev_b64 v[0:1], 3, v[1:2]
	v_mad_u64_u32 v[3:4], null, s20, v22, 0
	v_add_nc_u32_e32 v26, 0x54, v22
	v_add_nc_u32_e32 v30, 0xa8, v22
	;; [unrolled: 1-line block ×4, first 2 shown]
	v_mad_u64_u32 v[5:6], null, s20, v26, 0
	v_mov_b32_e32 v2, v4
	v_mad_u64_u32 v[7:8], null, s20, v30, 0
	s_waitcnt lgkmcnt(0)
	v_mul_lo_u32 v4, s7, v16
	v_mul_lo_u32 v18, s6, v17
	v_mad_u64_u32 v[9:10], null, s6, v16, 0
	v_mad_u64_u32 v[11:12], null, s21, v22, v[2:3]
	v_mov_b32_e32 v2, v6
	v_mov_b32_e32 v6, v8
	v_mad_u64_u32 v[12:13], null, s20, v21, 0
	v_add3_u32 v10, v10, v18, v4
	v_mad_u64_u32 v[18:19], null, s21, v26, v[2:3]
	v_mov_b32_e32 v4, v11
	v_mad_u64_u32 v[19:20], null, s20, v23, 0
	v_lshlrev_b64 v[8:9], 3, v[9:10]
	v_mad_u64_u32 v[10:11], null, s21, v30, v[6:7]
	v_lshlrev_b64 v[3:4], 3, v[3:4]
	v_mov_b32_e32 v2, v13
	v_mov_b32_e32 v6, v18
	v_add_co_u32 v11, s0, s8, v8
	v_add_co_ci_u32_e64 v9, s0, s9, v9, s0
	v_mov_b32_e32 v8, v10
	v_add_co_u32 v27, s0, v11, v0
	v_add_co_ci_u32_e64 v28, s0, v9, v1, s0
	v_add_nc_u32_e32 v11, 0x1a4, v22
	v_add_co_u32 v3, s0, v27, v3
	v_lshlrev_b64 v[0:1], 3, v[5:6]
	v_add_nc_u32_e32 v18, 0x1f8, v22
	v_mad_u64_u32 v[9:10], null, s20, v11, 0
	v_mad_u64_u32 v[5:6], null, s21, v21, v[2:3]
	v_mov_b32_e32 v2, v20
	v_lshlrev_b64 v[6:7], 3, v[7:8]
	v_add_co_ci_u32_e64 v4, s0, v28, v4, s0
	v_add_co_u32 v0, s0, v27, v0
	v_mad_u64_u32 v[20:21], null, s21, v23, v[2:3]
	v_mad_u64_u32 v[23:24], null, s20, v18, 0
	v_mov_b32_e32 v2, v10
	v_mov_b32_e32 v13, v5
	v_add_co_ci_u32_e64 v1, s0, v28, v1, s0
	v_add_co_u32 v5, s0, v27, v6
	v_mad_u64_u32 v[10:11], null, s21, v11, v[2:3]
	v_mov_b32_e32 v2, v24
	v_add_co_ci_u32_e64 v6, s0, v28, v7, s0
	v_lshlrev_b64 v[7:8], 3, v[12:13]
	v_mad_u64_u32 v[11:12], null, s21, v18, v[2:3]
	v_lshlrev_b64 v[12:13], 3, v[19:20]
	v_lshlrev_b64 v[9:10], 3, v[9:10]
	v_add_co_u32 v7, s0, v27, v7
	v_add_co_ci_u32_e64 v8, s0, v28, v8, s0
	v_mov_b32_e32 v24, v11
	v_add_co_u32 v11, s0, v27, v12
	v_add_co_ci_u32_e64 v12, s0, v28, v13, s0
	v_lshlrev_b64 v[18:19], 3, v[23:24]
	v_add_co_u32 v9, s0, v27, v9
	v_add_co_ci_u32_e64 v10, s0, v28, v10, s0
	v_add_co_u32 v18, s0, v27, v18
	v_add_co_ci_u32_e64 v19, s0, v28, v19, s0
	s_clause 0x6
	global_load_dwordx2 v[2:3], v[3:4], off
	global_load_dwordx2 v[0:1], v[0:1], off
	;; [unrolled: 1-line block ×7, first 2 shown]
	v_lshlrev_b32_e32 v10, 3, v22
	v_add3_u32 v10, 0, v25, v10
	v_add_nc_u32_e32 v13, 0x800, v10
	s_waitcnt vmcnt(5)
	ds_write2_b64 v10, v[2:3], v[0:1] offset1:84
	s_waitcnt vmcnt(3)
	ds_write2_b64 v10, v[4:5], v[6:7] offset0:168 offset1:252
	s_waitcnt vmcnt(1)
	ds_write2_b64 v13, v[11:12], v[8:9] offset0:80 offset1:164
	s_waitcnt vmcnt(0)
	ds_write_b64 v10, v[18:19] offset:4032
.LBB0_12:
	s_or_b32 exec_lo, exec_lo, s1
	v_lshlrev_b32_e32 v12, 3, v22
	s_load_dwordx2 s[4:5], s[4:5], 0x0
	s_waitcnt lgkmcnt(0)
	s_barrier
	buffer_gl0_inv
	v_add3_u32 v24, 0, v12, v25
	v_add_nc_u32_e32 v23, 0, v25
	v_cmp_gt_u32_e64 s0, 28, v22
	v_add_nc_u32_e32 v29, 0x800, v24
	v_add_nc_u32_e32 v31, 0x400, v24
	;; [unrolled: 1-line block ×3, first 2 shown]
	ds_read2_b64 v[0:3], v24 offset0:84 offset1:168
	ds_read2_b64 v[4:7], v29 offset0:164 offset1:248
	;; [unrolled: 1-line block ×3, first 2 shown]
	ds_read_b64 v[12:13], v27
	s_waitcnt lgkmcnt(0)
	s_barrier
	buffer_gl0_inv
	v_add_f32_e32 v18, v0, v6
	v_add_f32_e32 v19, v1, v7
	v_sub_f32_e32 v0, v0, v6
	v_sub_f32_e32 v1, v1, v7
	v_add_f32_e32 v6, v2, v4
	v_add_f32_e32 v7, v3, v5
	v_sub_f32_e32 v2, v2, v4
	v_sub_f32_e32 v3, v3, v5
	;; [unrolled: 4-line block ×4, first 2 shown]
	v_sub_f32_e32 v18, v18, v4
	v_sub_f32_e32 v19, v19, v5
	;; [unrolled: 1-line block ×4, first 2 shown]
	v_add_f32_e32 v28, v8, v2
	v_add_f32_e32 v32, v9, v3
	v_sub_f32_e32 v33, v8, v2
	v_sub_f32_e32 v34, v9, v3
	;; [unrolled: 1-line block ×3, first 2 shown]
	v_add_f32_e32 v4, v4, v10
	v_add_f32_e32 v5, v5, v11
	v_sub_f32_e32 v2, v2, v0
	v_sub_f32_e32 v8, v0, v8
	;; [unrolled: 1-line block ×3, first 2 shown]
	v_add_f32_e32 v10, v28, v0
	v_add_f32_e32 v11, v32, v1
	v_mul_f32_e32 v18, 0x3f4a47b2, v18
	v_mul_f32_e32 v19, 0x3f4a47b2, v19
	;; [unrolled: 1-line block ×3, first 2 shown]
	v_add_f32_e32 v0, v12, v4
	v_add_f32_e32 v1, v13, v5
	v_mul_f32_e32 v12, 0x3d64c772, v7
	v_mul_f32_e32 v13, 0x3f08b237, v33
	;; [unrolled: 1-line block ×5, first 2 shown]
	v_fmamk_f32 v4, v4, 0xbf955555, v0
	v_fmamk_f32 v5, v5, 0xbf955555, v1
	;; [unrolled: 1-line block ×4, first 2 shown]
	v_fma_f32 v28, 0x3f3bfb3b, v20, -v28
	v_fma_f32 v12, 0x3f3bfb3b, v21, -v12
	;; [unrolled: 1-line block ×4, first 2 shown]
	v_fmamk_f32 v20, v8, 0xbeae86e6, v13
	v_fmamk_f32 v21, v9, 0xbeae86e6, v32
	v_fma_f32 v34, 0x3eae86e6, v9, -v34
	v_fma_f32 v13, 0xbf5ff5aa, v2, -v13
	;; [unrolled: 1-line block ×4, first 2 shown]
	v_add_f32_e32 v35, v6, v4
	v_add_f32_e32 v36, v7, v5
	;; [unrolled: 1-line block ×4, first 2 shown]
	v_fmac_f32_e32 v20, 0xbee1c552, v10
	v_fmac_f32_e32 v21, 0xbee1c552, v11
	;; [unrolled: 1-line block ×3, first 2 shown]
	v_add_f32_e32 v8, v28, v4
	v_add_f32_e32 v18, v19, v5
	v_fmac_f32_e32 v13, 0xbee1c552, v10
	v_fmac_f32_e32 v33, 0xbee1c552, v10
	;; [unrolled: 1-line block ×3, first 2 shown]
	v_add_f32_e32 v2, v35, v21
	v_sub_f32_e32 v3, v36, v20
	v_add_f32_e32 v4, v34, v12
	v_sub_f32_e32 v10, v12, v34
	v_mad_u32_u24 v12, v22, 48, v24
	v_sub_f32_e32 v5, v18, v33
	v_sub_f32_e32 v6, v8, v32
	v_add_f32_e32 v7, v13, v9
	v_lshl_add_u32 v28, v26, 3, v23
	v_add_f32_e32 v8, v32, v8
	v_sub_f32_e32 v9, v9, v13
	v_add_f32_e32 v11, v33, v18
	v_sub_f32_e32 v18, v35, v21
	v_add_f32_e32 v19, v20, v36
	ds_write2_b64 v12, v[0:1], v[2:3] offset1:1
	ds_write2_b64 v12, v[4:5], v[6:7] offset0:2 offset1:3
	ds_write2_b64 v12, v[8:9], v[10:11] offset0:4 offset1:5
	ds_write_b64 v12, v[18:19] offset:48
	s_waitcnt lgkmcnt(0)
	s_barrier
	buffer_gl0_inv
	ds_read_b64 v[20:21], v27
	ds_read_b64 v[0:1], v28
	s_waitcnt lgkmcnt(1)
	ds_read_b32 v21, v27 offset:4
	ds_read2_b64 v[6:9], v31 offset0:68 offset1:152
	ds_read2_b64 v[2:5], v29 offset0:136 offset1:220
	v_lshlrev_b32_e32 v29, 3, v30
                                        ; implicit-def: $vgpr13
	s_and_saveexec_b32 s1, s0
	s_cbranch_execz .LBB0_14
; %bb.13:
	v_add3_u32 v10, 0, v29, v25
	v_add_nc_u32_e32 v11, 0xa00, v24
	ds_read_b64 v[18:19], v10
	ds_read2_b64 v[10:13], v11 offset0:44 offset1:240
.LBB0_14:
	s_or_b32 exec_lo, exec_lo, s1
	v_and_b32_e32 v32, 0xff, v22
	v_and_b32_e32 v31, 0xff, v26
	;; [unrolled: 1-line block ×3, first 2 shown]
	v_mov_b32_e32 v39, 4
	v_mul_lo_u16 v33, v32, 37
	v_mul_lo_u16 v35, v31, 37
	;; [unrolled: 1-line block ×3, first 2 shown]
	v_lshrrev_b16 v33, 8, v33
	v_lshrrev_b16 v35, 8, v35
	;; [unrolled: 1-line block ×3, first 2 shown]
	v_sub_nc_u16 v36, v22, v33
	v_sub_nc_u16 v37, v26, v35
	;; [unrolled: 1-line block ×3, first 2 shown]
	v_lshrrev_b16 v36, 1, v36
	v_lshrrev_b16 v37, 1, v37
	;; [unrolled: 1-line block ×3, first 2 shown]
	v_and_b32_e32 v36, 0x7f, v36
	v_and_b32_e32 v37, 0x7f, v37
	v_add_nc_u16 v33, v36, v33
	v_and_b32_e32 v36, 0x7f, v38
	v_add_nc_u16 v35, v37, v35
	v_lshrrev_b16 v47, 2, v33
	v_add_nc_u16 v33, v36, v34
	v_lshrrev_b16 v34, 2, v35
	v_mul_lo_u16 v35, v47, 7
	v_lshrrev_b16 v33, 2, v33
	v_mul_lo_u16 v36, v34, 7
	v_and_b32_e32 v47, 0xffff, v47
	v_and_b32_e32 v50, 0xffff, v34
	v_sub_nc_u16 v48, v22, v35
	v_mul_lo_u16 v35, v33, 7
	v_sub_nc_u16 v49, v26, v36
	v_mov_b32_e32 v34, 3
	v_mad_u32_u24 v47, 0xa8, v47, 0
	v_lshlrev_b32_sdwa v36, v39, v48 dst_sel:DWORD dst_unused:UNUSED_PAD src0_sel:DWORD src1_sel:BYTE_0
	v_sub_nc_u16 v30, v30, v35
	v_lshlrev_b32_sdwa v40, v39, v49 dst_sel:DWORD dst_unused:UNUSED_PAD src0_sel:DWORD src1_sel:BYTE_0
	v_mad_u32_u24 v50, 0xa8, v50, 0
	v_lshlrev_b32_sdwa v48, v34, v48 dst_sel:DWORD dst_unused:UNUSED_PAD src0_sel:DWORD src1_sel:BYTE_0
	global_load_dwordx4 v[35:38], v36, s[12:13]
	v_lshlrev_b32_sdwa v43, v39, v30 dst_sel:DWORD dst_unused:UNUSED_PAD src0_sel:DWORD src1_sel:BYTE_0
	v_lshlrev_b32_sdwa v49, v34, v49 dst_sel:DWORD dst_unused:UNUSED_PAD src0_sel:DWORD src1_sel:BYTE_0
	s_clause 0x1
	global_load_dwordx4 v[39:42], v40, s[12:13]
	global_load_dwordx4 v[43:46], v43, s[12:13]
	v_add3_u32 v47, v47, v48, v25
	v_add3_u32 v48, v50, v49, v25
	s_waitcnt vmcnt(0) lgkmcnt(0)
	s_barrier
	buffer_gl0_inv
	v_mul_f32_e32 v49, v36, v7
	v_mul_f32_e32 v36, v36, v6
	;; [unrolled: 1-line block ×12, first 2 shown]
	v_fmac_f32_e32 v49, v35, v6
	v_fma_f32 v6, v35, v7, -v36
	v_fmac_f32_e32 v50, v37, v2
	v_fma_f32 v2, v37, v3, -v38
	;; [unrolled: 2-line block ×6, first 2 shown]
	v_add_f32_e32 v10, v49, v50
	v_add_f32_e32 v13, v6, v2
	;; [unrolled: 1-line block ×3, first 2 shown]
	v_sub_f32_e32 v38, v3, v8
	v_add_f32_e32 v39, v1, v3
	v_add_f32_e32 v3, v3, v8
	;; [unrolled: 1-line block ×5, first 2 shown]
	v_sub_f32_e32 v11, v6, v2
	v_add_f32_e32 v12, v21, v6
	v_sub_f32_e32 v37, v49, v50
	v_add_f32_e32 v35, v0, v51
	;; [unrolled: 2-line block ×4, first 2 shown]
	v_sub_f32_e32 v5, v53, v54
	v_fmac_f32_e32 v20, -0.5, v10
	v_fmac_f32_e32 v21, -0.5, v13
	v_fma_f32 v0, -0.5, v36, v0
	v_fmac_f32_e32 v1, -0.5, v3
	v_fmac_f32_e32 v18, -0.5, v42
	;; [unrolled: 1-line block ×3, first 2 shown]
	v_add_f32_e32 v6, v7, v50
	v_add_f32_e32 v7, v12, v2
	;; [unrolled: 1-line block ×6, first 2 shown]
	v_fmamk_f32 v35, v11, 0xbf5db3d7, v20
	v_fmac_f32_e32 v20, 0x3f5db3d7, v11
	v_fmamk_f32 v36, v37, 0x3f5db3d7, v21
	v_fmamk_f32 v8, v38, 0xbf5db3d7, v0
	v_fmac_f32_e32 v0, 0x3f5db3d7, v38
	v_fmamk_f32 v9, v40, 0x3f5db3d7, v1
	v_fmac_f32_e32 v1, 0xbf5db3d7, v40
	v_fmamk_f32 v10, v4, 0xbf5db3d7, v18
	v_fmamk_f32 v11, v5, 0x3f5db3d7, v19
	v_fmac_f32_e32 v21, 0xbf5db3d7, v37
	ds_write2_b64 v47, v[6:7], v[35:36] offset1:7
	ds_write_b64 v47, v[20:21] offset:112
	ds_write2_b64 v48, v[12:13], v[8:9] offset1:7
	ds_write_b64 v48, v[0:1] offset:112
	s_and_saveexec_b32 s1, s0
	s_cbranch_execz .LBB0_16
; %bb.15:
	v_and_b32_e32 v6, 0xffff, v33
	v_lshlrev_b32_sdwa v7, v34, v30 dst_sel:DWORD dst_unused:UNUSED_PAD src0_sel:DWORD src1_sel:BYTE_0
	v_mul_f32_e32 v5, 0x3f5db3d7, v5
	v_mul_f32_e32 v4, 0x3f5db3d7, v4
	v_mad_u32_u24 v6, 0xa8, v6, 0
	v_sub_f32_e32 v5, v19, v5
	v_add_f32_e32 v4, v4, v18
	v_add3_u32 v6, v6, v7, v25
	ds_write2_b64 v6, v[2:3], v[10:11] offset1:7
	ds_write_b64 v6, v[4:5] offset:112
.LBB0_16:
	s_or_b32 exec_lo, exec_lo, s1
	v_add_nc_u32_e32 v20, 0x400, v24
	s_waitcnt lgkmcnt(0)
	s_barrier
	buffer_gl0_inv
	v_cmp_gt_u32_e64 s0, 63, v22
	ds_read2_b64 v[4:7], v20 offset0:19 offset1:166
	ds_read_b64 v[12:13], v27
	ds_read_b64 v[18:19], v24 offset:3528
	s_and_saveexec_b32 s1, s0
	s_cbranch_execz .LBB0_18
; %bb.17:
	ds_read2_b64 v[0:3], v20 offset0:103 offset1:250
	ds_read_b64 v[8:9], v28
	ds_read_b64 v[10:11], v24 offset:4200
.LBB0_18:
	s_or_b32 exec_lo, exec_lo, s1
	v_mul_lo_u16 v20, 0x87, v32
	v_lshrrev_b16 v20, 8, v20
	v_sub_nc_u16 v21, v22, v20
	v_lshrrev_b16 v21, 1, v21
	v_and_b32_e32 v21, 0x7f, v21
	v_add_nc_u16 v20, v21, v20
	v_lshrrev_b16 v20, 4, v20
	v_and_b32_e32 v21, 15, v20
	v_mov_b32_e32 v20, 3
	v_mul_lo_u16 v30, v21, 21
	v_sub_nc_u16 v30, v22, v30
	v_mul_u32_u24_sdwa v32, v30, v20 dst_sel:DWORD dst_unused:UNUSED_PAD src0_sel:BYTE_0 src1_sel:DWORD
	v_lshlrev_b32_e32 v36, 3, v32
	s_clause 0x1
	global_load_dwordx4 v[32:35], v36, s[12:13] offset:112
	global_load_dwordx2 v[36:37], v36, s[12:13] offset:128
	s_waitcnt vmcnt(0) lgkmcnt(0)
	s_barrier
	buffer_gl0_inv
	v_mul_f32_e32 v38, v33, v5
	v_mul_f32_e32 v33, v33, v4
	;; [unrolled: 1-line block ×6, first 2 shown]
	v_fmac_f32_e32 v38, v32, v4
	v_fma_f32 v4, v32, v5, -v33
	v_fmac_f32_e32 v39, v34, v6
	v_fma_f32 v5, v34, v7, -v35
	;; [unrolled: 2-line block ×3, first 2 shown]
	v_and_b32_e32 v7, 0xffff, v21
	v_sub_f32_e32 v18, v12, v39
	v_sub_f32_e32 v19, v13, v5
	;; [unrolled: 1-line block ×4, first 2 shown]
	v_mad_u32_u24 v21, 0x2a0, v7, 0
	v_fma_f32 v32, v12, 2.0, -v18
	v_fma_f32 v33, v13, 2.0, -v19
	;; [unrolled: 1-line block ×4, first 2 shown]
	v_lshlrev_b32_sdwa v13, v20, v30 dst_sel:DWORD dst_unused:UNUSED_PAD src0_sel:DWORD src1_sel:BYTE_0
	v_add_f32_e32 v4, v18, v6
	v_sub_f32_e32 v5, v19, v5
	v_sub_f32_e32 v6, v32, v7
	;; [unrolled: 1-line block ×3, first 2 shown]
	v_add3_u32 v21, v21, v13, v25
	v_fma_f32 v12, v18, 2.0, -v4
	v_fma_f32 v13, v19, 2.0, -v5
	;; [unrolled: 1-line block ×4, first 2 shown]
	ds_write2_b64 v21, v[18:19], v[12:13] offset1:21
	ds_write2_b64 v21, v[6:7], v[4:5] offset0:42 offset1:63
	s_and_saveexec_b32 s1, s0
	s_cbranch_execz .LBB0_20
; %bb.19:
	v_mul_lo_u16 v4, 0x87, v31
	v_lshrrev_b16 v4, 8, v4
	v_sub_nc_u16 v5, v26, v4
	v_lshrrev_b16 v5, 1, v5
	v_and_b32_e32 v5, 0x7f, v5
	v_add_nc_u16 v4, v5, v4
	v_lshrrev_b16 v4, 4, v4
	v_and_b32_e32 v18, 15, v4
	v_mul_lo_u16 v4, v18, 21
	v_sub_nc_u16 v19, v26, v4
	v_mul_u32_u24_sdwa v4, v19, v20 dst_sel:DWORD dst_unused:UNUSED_PAD src0_sel:BYTE_0 src1_sel:DWORD
	v_lshlrev_b32_e32 v12, 3, v4
	s_clause 0x1
	global_load_dwordx4 v[4:7], v12, s[12:13] offset:112
	global_load_dwordx2 v[12:13], v12, s[12:13] offset:128
	s_waitcnt vmcnt(1)
	v_mul_f32_e32 v21, v2, v7
	v_mul_f32_e32 v26, v1, v5
	s_waitcnt vmcnt(0)
	v_mul_f32_e32 v30, v11, v13
	v_mul_f32_e32 v5, v0, v5
	;; [unrolled: 1-line block ×4, first 2 shown]
	v_fma_f32 v3, v3, v6, -v21
	v_fmac_f32_e32 v26, v0, v4
	v_fma_f32 v0, v1, v4, -v5
	v_fma_f32 v1, v11, v12, -v13
	v_fmac_f32_e32 v7, v2, v6
	v_fmac_f32_e32 v30, v10, v12
	v_and_b32_e32 v2, 0xffff, v18
	v_sub_f32_e32 v4, v9, v3
	v_sub_f32_e32 v3, v0, v1
	;; [unrolled: 1-line block ×4, first 2 shown]
	v_mad_u32_u24 v5, 0x2a0, v2, 0
	v_fma_f32 v7, v9, 2.0, -v4
	v_fma_f32 v2, v0, 2.0, -v3
	;; [unrolled: 1-line block ×4, first 2 shown]
	v_lshlrev_b32_sdwa v10, v20, v19 dst_sel:DWORD dst_unused:UNUSED_PAD src0_sel:DWORD src1_sel:BYTE_0
	v_sub_f32_e32 v1, v4, v1
	v_add_f32_e32 v0, v6, v3
	v_sub_f32_e32 v3, v7, v2
	v_sub_f32_e32 v2, v8, v9
	v_add3_u32 v9, v5, v10, v25
	v_fma_f32 v5, v4, 2.0, -v1
	v_fma_f32 v4, v6, 2.0, -v0
	;; [unrolled: 1-line block ×4, first 2 shown]
	ds_write2_b64 v9, v[6:7], v[4:5] offset1:21
	ds_write2_b64 v9, v[2:3], v[0:1] offset0:42 offset1:63
.LBB0_20:
	s_or_b32 exec_lo, exec_lo, s1
	v_mul_u32_u24_e32 v0, 6, v22
	s_waitcnt lgkmcnt(0)
	s_barrier
	buffer_gl0_inv
	v_add3_u32 v18, 0, v29, v25
	v_lshlrev_b32_e32 v8, 3, v0
	v_add_nc_u32_e32 v19, 0x400, v24
	v_add_nc_u32_e32 v34, 0x800, v24
	s_clause 0x2
	global_load_dwordx4 v[0:3], v8, s[12:13] offset:616
	global_load_dwordx4 v[4:7], v8, s[12:13] offset:632
	;; [unrolled: 1-line block ×3, first 2 shown]
	ds_read_b64 v[12:13], v28
	ds_read_b64 v[25:26], v18
	ds_read2_b64 v[18:21], v19 offset0:124 offset1:208
	ds_read2_b64 v[28:31], v34 offset0:164 offset1:248
	ds_read_b64 v[32:33], v27
	s_waitcnt vmcnt(0) lgkmcnt(0)
	s_barrier
	buffer_gl0_inv
	v_mul_f32_e32 v27, v1, v13
	v_mul_f32_e32 v1, v1, v12
	;; [unrolled: 1-line block ×12, first 2 shown]
	v_fmac_f32_e32 v27, v0, v12
	v_fma_f32 v0, v0, v13, -v1
	v_fmac_f32_e32 v35, v2, v25
	v_fma_f32 v1, v2, v26, -v3
	v_fma_f32 v2, v4, v19, -v5
	v_fmac_f32_e32 v39, v10, v30
	v_fma_f32 v3, v10, v31, -v11
	v_fmac_f32_e32 v38, v8, v28
	;; [unrolled: 2-line block ×3, first 2 shown]
	v_fmac_f32_e32 v37, v6, v20
	v_fma_f32 v4, v6, v21, -v7
	v_add_f32_e32 v6, v27, v39
	v_add_f32_e32 v7, v0, v3
	v_sub_f32_e32 v0, v0, v3
	v_add_f32_e32 v3, v35, v38
	v_add_f32_e32 v9, v1, v5
	v_sub_f32_e32 v10, v35, v38
	v_sub_f32_e32 v1, v1, v5
	v_add_f32_e32 v5, v36, v37
	v_add_f32_e32 v11, v2, v4
	v_sub_f32_e32 v12, v37, v36
	v_sub_f32_e32 v2, v4, v2
	v_add_f32_e32 v4, v3, v6
	v_add_f32_e32 v13, v9, v7
	v_sub_f32_e32 v8, v27, v39
	v_sub_f32_e32 v18, v3, v6
	v_sub_f32_e32 v19, v9, v7
	;; [unrolled: 1-line block ×6, first 2 shown]
	v_add_f32_e32 v20, v12, v10
	v_add_f32_e32 v21, v2, v1
	v_sub_f32_e32 v25, v12, v10
	v_sub_f32_e32 v26, v2, v1
	;; [unrolled: 1-line block ×3, first 2 shown]
	v_add_f32_e32 v4, v5, v4
	v_add_f32_e32 v5, v11, v13
	v_sub_f32_e32 v10, v10, v8
	v_sub_f32_e32 v12, v8, v12
	;; [unrolled: 1-line block ×3, first 2 shown]
	v_add_f32_e32 v8, v20, v8
	v_add_f32_e32 v11, v21, v0
	v_mul_f32_e32 v6, 0x3f4a47b2, v6
	v_mul_f32_e32 v7, 0x3f4a47b2, v7
	;; [unrolled: 1-line block ×7, first 2 shown]
	v_add_f32_e32 v0, v4, v32
	v_add_f32_e32 v1, v5, v33
	v_mul_f32_e32 v26, 0xbf5ff5aa, v10
	v_fmamk_f32 v3, v3, 0x3d64c772, v6
	v_fmamk_f32 v9, v9, 0x3d64c772, v7
	v_fma_f32 v13, 0x3f3bfb3b, v18, -v13
	v_fma_f32 v20, 0x3f3bfb3b, v19, -v20
	;; [unrolled: 1-line block ×4, first 2 shown]
	v_fmamk_f32 v18, v12, 0xbeae86e6, v21
	v_fmamk_f32 v19, v2, 0xbeae86e6, v25
	v_fma_f32 v10, 0xbf5ff5aa, v10, -v21
	v_fma_f32 v21, 0xbf5ff5aa, v27, -v25
	;; [unrolled: 1-line block ×3, first 2 shown]
	v_fmamk_f32 v2, v4, 0xbf955555, v0
	v_fmamk_f32 v4, v5, 0xbf955555, v1
	v_fma_f32 v12, 0x3eae86e6, v12, -v26
	v_fmac_f32_e32 v18, 0xbee1c552, v8
	v_fmac_f32_e32 v19, 0xbee1c552, v11
	v_add_f32_e32 v26, v3, v2
	v_add_f32_e32 v27, v9, v4
	v_fmac_f32_e32 v10, 0xbee1c552, v8
	v_fmac_f32_e32 v21, 0xbee1c552, v11
	;; [unrolled: 1-line block ×4, first 2 shown]
	v_add_f32_e32 v8, v13, v2
	v_add_f32_e32 v11, v6, v2
	;; [unrolled: 1-line block ×5, first 2 shown]
	v_sub_f32_e32 v3, v27, v18
	v_add_f32_e32 v4, v25, v11
	v_sub_f32_e32 v5, v13, v12
	v_sub_f32_e32 v6, v8, v21
	v_add_f32_e32 v7, v10, v9
	v_add_f32_e32 v8, v21, v8
	v_sub_f32_e32 v9, v9, v10
	v_sub_f32_e32 v10, v11, v25
	v_add_f32_e32 v11, v12, v13
	v_sub_f32_e32 v12, v26, v19
	v_add_f32_e32 v13, v18, v27
	ds_write2_b64 v24, v[0:1], v[2:3] offset1:84
	ds_write2_b64 v24, v[4:5], v[6:7] offset0:168 offset1:252
	ds_write2_b64 v34, v[8:9], v[10:11] offset0:80 offset1:164
	ds_write_b64 v24, v[12:13] offset:4032
	s_waitcnt lgkmcnt(0)
	s_barrier
	buffer_gl0_inv
	s_and_saveexec_b32 s0, vcc_lo
	s_cbranch_execz .LBB0_22
; %bb.21:
	v_mul_lo_u32 v1, s5, v16
	v_mul_lo_u32 v2, s4, v17
	v_mad_u64_u32 v[6:7], null, s4, v16, 0
	v_add_nc_u32_e32 v13, 0x54, v22
	v_mad_u64_u32 v[4:5], null, s2, v22, 0
	v_add_nc_u32_e32 v16, 0xa8, v22
	v_lshl_add_u32 v21, v22, 3, v23
	v_mad_u64_u32 v[8:9], null, s2, v13, 0
	v_add3_u32 v7, v7, v2, v1
	v_add_nc_u32_e32 v17, 0xfc, v22
	v_mov_b32_e32 v0, v5
	v_add_nc_u32_e32 v18, 0x150, v22
	v_add_nc_u32_e32 v19, 0x1a4, v22
	v_lshlrev_b64 v[6:7], 3, v[6:7]
	v_mov_b32_e32 v5, v9
	v_mad_u64_u32 v[10:11], null, s3, v22, v[0:1]
	v_lshlrev_b64 v[11:12], 3, v[14:15]
	ds_read2_b64 v[0:3], v21 offset1:84
	v_mad_u64_u32 v[13:14], null, s3, v13, v[5:6]
	v_mad_u64_u32 v[14:15], null, s2, v16, 0
	v_add_co_u32 v6, vcc_lo, s10, v6
	v_add_co_ci_u32_e32 v7, vcc_lo, s11, v7, vcc_lo
	v_mov_b32_e32 v9, v13
	v_add_co_u32 v23, vcc_lo, v6, v11
	v_mov_b32_e32 v5, v10
	v_add_co_ci_u32_e32 v24, vcc_lo, v7, v12, vcc_lo
	v_lshlrev_b64 v[7:8], 3, v[8:9]
	v_mov_b32_e32 v6, v15
	v_lshlrev_b64 v[4:5], 3, v[4:5]
	v_mad_u64_u32 v[12:13], null, s2, v18, 0
	v_add_nc_u32_e32 v20, 0x1f8, v22
	v_mad_u64_u32 v[9:10], null, s3, v16, v[6:7]
	v_mad_u64_u32 v[10:11], null, s2, v17, 0
	v_add_co_u32 v4, vcc_lo, v23, v4
	v_add_co_ci_u32_e32 v5, vcc_lo, v24, v5, vcc_lo
	v_add_co_u32 v6, vcc_lo, v23, v7
	v_add_co_ci_u32_e32 v7, vcc_lo, v24, v8, vcc_lo
	v_mov_b32_e32 v8, v11
	v_mov_b32_e32 v15, v9
	;; [unrolled: 1-line block ×3, first 2 shown]
	s_waitcnt lgkmcnt(0)
	global_store_dwordx2 v[4:5], v[0:1], off
	global_store_dwordx2 v[6:7], v[2:3], off
	v_add_nc_u32_e32 v7, 0x800, v21
	ds_read2_b64 v[0:3], v21 offset0:168 offset1:252
	v_lshlrev_b64 v[4:5], 3, v[14:15]
	v_mad_u64_u32 v[16:17], null, s3, v17, v[8:9]
	v_mad_u64_u32 v[8:9], null, s3, v18, v[9:10]
	v_mad_u64_u32 v[17:18], null, s2, v19, 0
	v_mov_b32_e32 v11, v16
	v_mov_b32_e32 v13, v8
	v_mad_u64_u32 v[8:9], null, s2, v20, 0
	v_mov_b32_e32 v6, v18
	v_lshlrev_b64 v[10:11], 3, v[10:11]
	v_lshlrev_b64 v[12:13], 3, v[12:13]
	v_mad_u64_u32 v[14:15], null, s3, v19, v[6:7]
	v_mad_u64_u32 v[19:20], null, s3, v20, v[9:10]
	v_add_co_u32 v15, vcc_lo, v23, v4
	v_add_co_ci_u32_e32 v16, vcc_lo, v24, v5, vcc_lo
	ds_read2_b64 v[4:7], v7 offset0:80 offset1:164
	v_mov_b32_e32 v18, v14
	ds_read_b64 v[20:21], v21 offset:4032
	v_mov_b32_e32 v9, v19
	v_add_co_u32 v10, vcc_lo, v23, v10
	v_lshlrev_b64 v[17:18], 3, v[17:18]
	v_add_co_ci_u32_e32 v11, vcc_lo, v24, v11, vcc_lo
	v_add_co_u32 v12, vcc_lo, v23, v12
	v_lshlrev_b64 v[8:9], 3, v[8:9]
	v_add_co_ci_u32_e32 v13, vcc_lo, v24, v13, vcc_lo
	v_add_co_u32 v17, vcc_lo, v23, v17
	v_add_co_ci_u32_e32 v18, vcc_lo, v24, v18, vcc_lo
	v_add_co_u32 v8, vcc_lo, v23, v8
	v_add_co_ci_u32_e32 v9, vcc_lo, v24, v9, vcc_lo
	s_waitcnt lgkmcnt(2)
	global_store_dwordx2 v[15:16], v[0:1], off
	global_store_dwordx2 v[10:11], v[2:3], off
	s_waitcnt lgkmcnt(1)
	global_store_dwordx2 v[12:13], v[4:5], off
	global_store_dwordx2 v[17:18], v[6:7], off
	s_waitcnt lgkmcnt(0)
	global_store_dwordx2 v[8:9], v[20:21], off
.LBB0_22:
	s_endpgm
	.section	.rodata,"a",@progbits
	.p2align	6, 0x0
	.amdhsa_kernel fft_rtc_back_len588_factors_7_3_4_7_wgs_252_tpt_84_sp_op_CI_CI_sbrr_dirReg
		.amdhsa_group_segment_fixed_size 0
		.amdhsa_private_segment_fixed_size 0
		.amdhsa_kernarg_size 104
		.amdhsa_user_sgpr_count 6
		.amdhsa_user_sgpr_private_segment_buffer 1
		.amdhsa_user_sgpr_dispatch_ptr 0
		.amdhsa_user_sgpr_queue_ptr 0
		.amdhsa_user_sgpr_kernarg_segment_ptr 1
		.amdhsa_user_sgpr_dispatch_id 0
		.amdhsa_user_sgpr_flat_scratch_init 0
		.amdhsa_user_sgpr_private_segment_size 0
		.amdhsa_wavefront_size32 1
		.amdhsa_uses_dynamic_stack 0
		.amdhsa_system_sgpr_private_segment_wavefront_offset 0
		.amdhsa_system_sgpr_workgroup_id_x 1
		.amdhsa_system_sgpr_workgroup_id_y 0
		.amdhsa_system_sgpr_workgroup_id_z 0
		.amdhsa_system_sgpr_workgroup_info 0
		.amdhsa_system_vgpr_workitem_id 0
		.amdhsa_next_free_vgpr 55
		.amdhsa_next_free_sgpr 31
		.amdhsa_reserve_vcc 1
		.amdhsa_reserve_flat_scratch 0
		.amdhsa_float_round_mode_32 0
		.amdhsa_float_round_mode_16_64 0
		.amdhsa_float_denorm_mode_32 3
		.amdhsa_float_denorm_mode_16_64 3
		.amdhsa_dx10_clamp 1
		.amdhsa_ieee_mode 1
		.amdhsa_fp16_overflow 0
		.amdhsa_workgroup_processor_mode 1
		.amdhsa_memory_ordered 1
		.amdhsa_forward_progress 0
		.amdhsa_shared_vgpr_count 0
		.amdhsa_exception_fp_ieee_invalid_op 0
		.amdhsa_exception_fp_denorm_src 0
		.amdhsa_exception_fp_ieee_div_zero 0
		.amdhsa_exception_fp_ieee_overflow 0
		.amdhsa_exception_fp_ieee_underflow 0
		.amdhsa_exception_fp_ieee_inexact 0
		.amdhsa_exception_int_div_zero 0
	.end_amdhsa_kernel
	.text
.Lfunc_end0:
	.size	fft_rtc_back_len588_factors_7_3_4_7_wgs_252_tpt_84_sp_op_CI_CI_sbrr_dirReg, .Lfunc_end0-fft_rtc_back_len588_factors_7_3_4_7_wgs_252_tpt_84_sp_op_CI_CI_sbrr_dirReg
                                        ; -- End function
	.section	.AMDGPU.csdata,"",@progbits
; Kernel info:
; codeLenInByte = 5556
; NumSgprs: 33
; NumVgprs: 55
; ScratchSize: 0
; MemoryBound: 0
; FloatMode: 240
; IeeeMode: 1
; LDSByteSize: 0 bytes/workgroup (compile time only)
; SGPRBlocks: 4
; VGPRBlocks: 6
; NumSGPRsForWavesPerEU: 33
; NumVGPRsForWavesPerEU: 55
; Occupancy: 16
; WaveLimiterHint : 1
; COMPUTE_PGM_RSRC2:SCRATCH_EN: 0
; COMPUTE_PGM_RSRC2:USER_SGPR: 6
; COMPUTE_PGM_RSRC2:TRAP_HANDLER: 0
; COMPUTE_PGM_RSRC2:TGID_X_EN: 1
; COMPUTE_PGM_RSRC2:TGID_Y_EN: 0
; COMPUTE_PGM_RSRC2:TGID_Z_EN: 0
; COMPUTE_PGM_RSRC2:TIDIG_COMP_CNT: 0
	.text
	.p2alignl 6, 3214868480
	.fill 48, 4, 3214868480
	.type	__hip_cuid_86956d5e8bed39a3,@object ; @__hip_cuid_86956d5e8bed39a3
	.section	.bss,"aw",@nobits
	.globl	__hip_cuid_86956d5e8bed39a3
__hip_cuid_86956d5e8bed39a3:
	.byte	0                               ; 0x0
	.size	__hip_cuid_86956d5e8bed39a3, 1

	.ident	"AMD clang version 19.0.0git (https://github.com/RadeonOpenCompute/llvm-project roc-6.4.0 25133 c7fe45cf4b819c5991fe208aaa96edf142730f1d)"
	.section	".note.GNU-stack","",@progbits
	.addrsig
	.addrsig_sym __hip_cuid_86956d5e8bed39a3
	.amdgpu_metadata
---
amdhsa.kernels:
  - .args:
      - .actual_access:  read_only
        .address_space:  global
        .offset:         0
        .size:           8
        .value_kind:     global_buffer
      - .offset:         8
        .size:           8
        .value_kind:     by_value
      - .actual_access:  read_only
        .address_space:  global
        .offset:         16
        .size:           8
        .value_kind:     global_buffer
      - .actual_access:  read_only
        .address_space:  global
        .offset:         24
        .size:           8
        .value_kind:     global_buffer
      - .actual_access:  read_only
        .address_space:  global
        .offset:         32
        .size:           8
        .value_kind:     global_buffer
      - .offset:         40
        .size:           8
        .value_kind:     by_value
      - .actual_access:  read_only
        .address_space:  global
        .offset:         48
        .size:           8
        .value_kind:     global_buffer
      - .actual_access:  read_only
        .address_space:  global
        .offset:         56
        .size:           8
        .value_kind:     global_buffer
      - .offset:         64
        .size:           4
        .value_kind:     by_value
      - .actual_access:  read_only
        .address_space:  global
        .offset:         72
        .size:           8
        .value_kind:     global_buffer
      - .actual_access:  read_only
        .address_space:  global
        .offset:         80
        .size:           8
        .value_kind:     global_buffer
      - .actual_access:  read_only
        .address_space:  global
        .offset:         88
        .size:           8
        .value_kind:     global_buffer
      - .actual_access:  write_only
        .address_space:  global
        .offset:         96
        .size:           8
        .value_kind:     global_buffer
    .group_segment_fixed_size: 0
    .kernarg_segment_align: 8
    .kernarg_segment_size: 104
    .language:       OpenCL C
    .language_version:
      - 2
      - 0
    .max_flat_workgroup_size: 252
    .name:           fft_rtc_back_len588_factors_7_3_4_7_wgs_252_tpt_84_sp_op_CI_CI_sbrr_dirReg
    .private_segment_fixed_size: 0
    .sgpr_count:     33
    .sgpr_spill_count: 0
    .symbol:         fft_rtc_back_len588_factors_7_3_4_7_wgs_252_tpt_84_sp_op_CI_CI_sbrr_dirReg.kd
    .uniform_work_group_size: 1
    .uses_dynamic_stack: false
    .vgpr_count:     55
    .vgpr_spill_count: 0
    .wavefront_size: 32
    .workgroup_processor_mode: 1
amdhsa.target:   amdgcn-amd-amdhsa--gfx1030
amdhsa.version:
  - 1
  - 2
...

	.end_amdgpu_metadata
